;; amdgpu-corpus repo=ROCm/rocFFT kind=compiled arch=gfx906 opt=O3
	.text
	.amdgcn_target "amdgcn-amd-amdhsa--gfx906"
	.amdhsa_code_object_version 6
	.protected	fft_rtc_back_len108_factors_9_4_3_wgs_120_tpt_12_dim1_sp_op_CI_CI_unitstride_sbrr_C2R_dirReg ; -- Begin function fft_rtc_back_len108_factors_9_4_3_wgs_120_tpt_12_dim1_sp_op_CI_CI_unitstride_sbrr_C2R_dirReg
	.globl	fft_rtc_back_len108_factors_9_4_3_wgs_120_tpt_12_dim1_sp_op_CI_CI_unitstride_sbrr_C2R_dirReg
	.p2align	8
	.type	fft_rtc_back_len108_factors_9_4_3_wgs_120_tpt_12_dim1_sp_op_CI_CI_unitstride_sbrr_C2R_dirReg,@function
fft_rtc_back_len108_factors_9_4_3_wgs_120_tpt_12_dim1_sp_op_CI_CI_unitstride_sbrr_C2R_dirReg: ; @fft_rtc_back_len108_factors_9_4_3_wgs_120_tpt_12_dim1_sp_op_CI_CI_unitstride_sbrr_C2R_dirReg
; %bb.0:
	v_mul_u32_u24_e32 v1, 0x1556, v0
	v_lshrrev_b32_e32 v1, 16, v1
	v_mad_u64_u32 v[22:23], s[0:1], s6, 10, v[1:2]
	s_mov_b32 s0, 0xcccccccd
	s_load_dwordx4 s[8:11], s[4:5], 0x18
	v_mul_hi_u32 v2, v22, s0
	v_mov_b32_e32 v23, 0
	s_movk_i32 s2, 0x1556
                                        ; implicit-def: $vgpr32
                                        ; implicit-def: $vgpr20
	s_waitcnt lgkmcnt(0)
	v_cmp_gt_u64_e32 vcc, s[10:11], v[22:23]
	v_lshrrev_b32_e32 v2, 3, v2
	v_mul_lo_u32 v2, v2, 10
	v_cmp_le_u64_e64 s[0:1], s[10:11], v[22:23]
	v_sub_u32_e32 v2, v22, v2
	s_and_saveexec_b64 s[6:7], s[0:1]
	s_xor_b64 s[0:1], exec, s[6:7]
; %bb.1:
	v_mul_u32_u24_sdwa v1, v0, s2 dst_sel:DWORD dst_unused:UNUSED_PAD src0_sel:WORD_0 src1_sel:DWORD
	v_mov_b32_e32 v3, 12
	v_mul_lo_u16_sdwa v1, v1, v3 dst_sel:DWORD dst_unused:UNUSED_PAD src0_sel:WORD_1 src1_sel:DWORD
	v_sub_u16_e32 v32, v0, v1
	v_sub_u16_e32 v20, v0, v1
                                        ; implicit-def: $vgpr1
                                        ; implicit-def: $vgpr0
; %bb.2:
	s_or_saveexec_b64 s[2:3], s[0:1]
	s_load_dwordx2 s[10:11], s[4:5], 0x0
	s_load_dwordx2 s[6:7], s[8:9], 0x8
	v_mul_u32_u24_e32 v2, 0x6d, v2
	v_lshlrev_b32_e32 v30, 3, v2
	s_xor_b64 exec, exec, s[2:3]
	s_cbranch_execz .LBB0_6
; %bb.3:
	s_load_dwordx2 s[0:1], s[4:5], 0x10
	v_mul_lo_u16_e32 v6, 12, v1
	v_sub_u16_e32 v32, v0, v6
	v_lshlrev_b32_e32 v21, 3, v32
	s_waitcnt lgkmcnt(0)
	s_load_dwordx2 s[0:1], s[0:1], 0x8
	s_waitcnt lgkmcnt(0)
	v_mad_u64_u32 v[3:4], s[8:9], s0, v22, 0
	s_load_dwordx2 s[8:9], s[4:5], 0x50
	v_mov_b32_e32 v1, v4
	v_mad_u64_u32 v[4:5], s[0:1], s1, v22, v[1:2]
	s_waitcnt lgkmcnt(0)
	v_mov_b32_e32 v5, s9
	v_lshlrev_b64 v[0:1], 3, v[3:4]
	v_add_co_u32_e64 v0, s[0:1], s8, v0
	v_addc_co_u32_e64 v1, s[0:1], v5, v1, s[0:1]
	v_add_co_u32_e64 v3, s[0:1], v0, v21
	v_addc_co_u32_e64 v4, s[0:1], 0, v1, s[0:1]
	global_load_dwordx2 v[5:6], v[3:4], off
	global_load_dwordx2 v[7:8], v[3:4], off offset:96
	global_load_dwordx2 v[9:10], v[3:4], off offset:192
	;; [unrolled: 1-line block ×8, first 2 shown]
	v_add3_u32 v3, 0, v30, v21
	v_cmp_eq_u16_e64 s[0:1], 11, v32
	s_waitcnt vmcnt(7)
	ds_write2_b64 v3, v[5:6], v[7:8] offset1:12
	s_waitcnt vmcnt(5)
	ds_write2_b64 v3, v[9:10], v[11:12] offset0:24 offset1:36
	s_waitcnt vmcnt(3)
	ds_write2_b64 v3, v[13:14], v[15:16] offset0:48 offset1:60
	;; [unrolled: 2-line block ×3, first 2 shown]
	s_waitcnt vmcnt(0)
	ds_write_b64 v3, v[23:24] offset:768
	v_mov_b32_e32 v20, v32
	s_and_saveexec_b64 s[8:9], s[0:1]
	s_cbranch_execz .LBB0_5
; %bb.4:
	global_load_dwordx2 v[0:1], v[0:1], off offset:864
	v_mov_b32_e32 v32, 11
	v_mov_b32_e32 v20, 11
	s_waitcnt vmcnt(0)
	ds_write_b64 v3, v[0:1] offset:776
.LBB0_5:
	s_or_b64 exec, exec, s[8:9]
.LBB0_6:
	s_or_b64 exec, exec, s[2:3]
	v_lshl_add_u32 v29, v2, 3, 0
	v_lshlrev_b32_e32 v0, 3, v20
	v_add_u32_e32 v31, v29, v0
	s_waitcnt lgkmcnt(0)
	s_barrier
	v_sub_u32_e32 v4, v29, v0
	ds_read_b32 v0, v31
	ds_read_b32 v1, v4 offset:864
	v_cmp_ne_u16_e64 s[0:1], 0, v32
	s_waitcnt lgkmcnt(0)
	v_add_f32_e32 v2, v1, v0
	v_sub_f32_e32 v3, v0, v1
	s_and_saveexec_b64 s[2:3], s[0:1]
	s_xor_b64 s[0:1], exec, s[2:3]
	s_cbranch_execz .LBB0_8
; %bb.7:
	v_mov_b32_e32 v2, 3
	v_lshlrev_b32_sdwa v2, v2, v32 dst_sel:DWORD dst_unused:UNUSED_PAD src0_sel:DWORD src1_sel:WORD_0
	global_load_dwordx2 v[5:6], v2, s[10:11] offset:792
	ds_read_b32 v2, v4 offset:868
	ds_read_b32 v3, v31 offset:4
	v_add_f32_e32 v7, v1, v0
	v_sub_f32_e32 v8, v0, v1
	s_waitcnt lgkmcnt(0)
	v_add_f32_e32 v9, v2, v3
	v_sub_f32_e32 v1, v3, v2
	s_waitcnt vmcnt(0)
	v_fma_f32 v3, v9, v6, v1
	v_fma_f32 v0, -v8, v6, v7
	v_fma_f32 v1, v9, v6, -v1
	v_fma_f32 v2, v8, v6, v7
	v_fmac_f32_e32 v0, v5, v9
	v_fmac_f32_e32 v1, v8, v5
	v_fma_f32 v2, -v5, v9, v2
	v_fmac_f32_e32 v3, v8, v5
	ds_write_b64 v4, v[0:1] offset:864
.LBB0_8:
	s_andn2_saveexec_b64 s[0:1], s[0:1]
	s_cbranch_execz .LBB0_10
; %bb.9:
	ds_read_b64 v[0:1], v29 offset:432
	s_waitcnt lgkmcnt(0)
	v_add_f32_e32 v0, v0, v0
	v_mul_f32_e32 v1, -2.0, v1
	ds_write_b64 v29, v[0:1] offset:432
.LBB0_10:
	s_or_b64 exec, exec, s[0:1]
	v_mov_b32_e32 v21, 0
	s_add_u32 s0, s10, 0x318
	v_lshlrev_b64 v[0:1], 3, v[20:21]
	s_addc_u32 s1, s11, 0
	v_mov_b32_e32 v5, s1
	v_add_co_u32_e64 v0, s[0:1], s0, v0
	v_addc_co_u32_e64 v1, s[0:1], v5, v1, s[0:1]
	global_load_dwordx2 v[5:6], v[0:1], off offset:96
	global_load_dwordx2 v[7:8], v[0:1], off offset:192
	;; [unrolled: 1-line block ×3, first 2 shown]
	ds_write_b64 v31, v[2:3]
	ds_read_b64 v[2:3], v31 offset:96
	ds_read_b64 v[11:12], v4 offset:768
	s_waitcnt lgkmcnt(0)
	v_add_f32_e32 v13, v2, v11
	v_add_f32_e32 v14, v12, v3
	v_sub_f32_e32 v15, v2, v11
	v_sub_f32_e32 v2, v3, v12
	s_waitcnt vmcnt(2)
	v_fma_f32 v16, v15, v6, v13
	v_fma_f32 v3, v14, v6, v2
	v_fma_f32 v11, -v15, v6, v13
	v_fma_f32 v12, v14, v6, -v2
	v_fma_f32 v2, -v5, v14, v16
	v_fmac_f32_e32 v3, v15, v5
	v_fmac_f32_e32 v11, v5, v14
	;; [unrolled: 1-line block ×3, first 2 shown]
	ds_write_b64 v31, v[2:3] offset:96
	ds_write_b64 v4, v[11:12] offset:768
	ds_read_b64 v[2:3], v31 offset:192
	ds_read_b64 v[5:6], v4 offset:672
	s_waitcnt lgkmcnt(0)
	v_add_f32_e32 v11, v2, v5
	v_add_f32_e32 v12, v6, v3
	v_sub_f32_e32 v13, v2, v5
	v_sub_f32_e32 v2, v3, v6
	s_waitcnt vmcnt(1)
	v_fma_f32 v14, v13, v8, v11
	v_fma_f32 v3, v12, v8, v2
	v_fma_f32 v5, -v13, v8, v11
	v_fma_f32 v6, v12, v8, -v2
	v_fma_f32 v2, -v7, v12, v14
	v_fmac_f32_e32 v3, v13, v7
	v_fmac_f32_e32 v5, v7, v12
	;; [unrolled: 1-line block ×3, first 2 shown]
	ds_write_b64 v31, v[2:3] offset:192
	ds_write_b64 v4, v[5:6] offset:672
	ds_read_b64 v[2:3], v31 offset:288
	ds_read_b64 v[5:6], v4 offset:576
	v_or_b32_e32 v7, 48, v20
	v_cmp_gt_u32_e64 s[0:1], 54, v7
	s_waitcnt lgkmcnt(0)
	v_add_f32_e32 v8, v2, v5
	v_add_f32_e32 v11, v6, v3
	v_sub_f32_e32 v12, v2, v5
	v_sub_f32_e32 v2, v3, v6
	s_waitcnt vmcnt(0)
	v_fma_f32 v13, v12, v10, v8
	v_fma_f32 v3, v11, v10, v2
	v_fma_f32 v5, -v12, v10, v8
	v_fma_f32 v6, v11, v10, -v2
	v_fma_f32 v2, -v9, v11, v13
	v_fmac_f32_e32 v3, v12, v9
	v_fmac_f32_e32 v5, v9, v11
	;; [unrolled: 1-line block ×3, first 2 shown]
	ds_write_b64 v31, v[2:3] offset:288
	ds_write_b64 v4, v[5:6] offset:576
	s_and_saveexec_b64 s[2:3], s[0:1]
	s_cbranch_execz .LBB0_12
; %bb.11:
	global_load_dwordx2 v[0:1], v[0:1], off offset:384
	ds_read_b64 v[2:3], v31 offset:384
	ds_read_b64 v[5:6], v4 offset:480
	s_waitcnt lgkmcnt(0)
	v_add_f32_e32 v7, v2, v5
	v_add_f32_e32 v8, v6, v3
	v_sub_f32_e32 v9, v2, v5
	v_sub_f32_e32 v3, v3, v6
	s_waitcnt vmcnt(0)
	v_fma_f32 v10, v9, v1, v7
	v_fma_f32 v2, v8, v1, v3
	v_fma_f32 v5, -v9, v1, v7
	v_fma_f32 v6, v8, v1, -v3
	v_fma_f32 v1, -v0, v8, v10
	v_fmac_f32_e32 v2, v9, v0
	v_fmac_f32_e32 v5, v0, v8
	;; [unrolled: 1-line block ×3, first 2 shown]
	ds_write_b64 v31, v[1:2] offset:384
	ds_write_b64 v4, v[5:6] offset:480
.LBB0_12:
	s_or_b64 exec, exec, s[2:3]
	v_lshl_add_u32 v16, v20, 3, 0
	v_add_u32_e32 v21, v16, v30
	s_waitcnt lgkmcnt(0)
	s_barrier
	s_barrier
	ds_read2_b64 v[0:3], v21 offset0:12 offset1:24
	ds_read2_b64 v[4:7], v21 offset0:84 offset1:96
	;; [unrolled: 1-line block ×4, first 2 shown]
	v_lshlrev_b32_e32 v33, 6, v20
	v_add_u32_e32 v34, v16, v33
	s_waitcnt lgkmcnt(2)
	v_add_f32_e32 v19, v2, v4
	v_add_f32_e32 v23, v3, v5
	v_sub_f32_e32 v26, v2, v4
	v_sub_f32_e32 v27, v3, v5
	ds_read_b64 v[2:3], v31
	v_add_f32_e32 v17, v0, v6
	v_add_f32_e32 v18, v1, v7
	s_waitcnt lgkmcnt(1)
	v_add_f32_e32 v28, v8, v14
	v_add_f32_e32 v35, v9, v15
	;; [unrolled: 1-line block ×4, first 2 shown]
	v_sub_f32_e32 v24, v0, v6
	v_sub_f32_e32 v25, v1, v7
	v_add_f32_e32 v0, v28, v36
	v_add_f32_e32 v1, v35, v37
	;; [unrolled: 1-line block ×5, first 2 shown]
	v_sub_f32_e32 v14, v8, v14
	v_sub_f32_e32 v15, v9, v15
	v_add_f32_e32 v41, v11, v13
	v_add_f32_e32 v4, v12, v0
	;; [unrolled: 1-line block ×3, first 2 shown]
	s_waitcnt lgkmcnt(0)
	v_mov_b32_e32 v0, v2
	v_mov_b32_e32 v1, v3
	v_add_f32_e32 v9, v40, v36
	v_add_f32_e32 v8, v28, v2
	v_sub_f32_e32 v38, v10, v12
	v_mul_f32_e32 v6, 0x3f248dbb, v24
	v_mul_f32_e32 v7, 0x3f248dbb, v25
	v_fmac_f32_e32 v0, 0x3f441b7d, v17
	v_fmac_f32_e32 v1, 0x3f441b7d, v18
	v_fmac_f32_e32 v8, -0.5, v9
	v_add_f32_e32 v9, v35, v3
	v_add_f32_e32 v10, v41, v37
	v_sub_f32_e32 v39, v11, v13
	v_fmac_f32_e32 v6, 0x3f7c1c5c, v26
	v_fmac_f32_e32 v7, 0x3f7c1c5c, v27
	;; [unrolled: 1-line block ×4, first 2 shown]
	v_fmac_f32_e32 v9, -0.5, v10
	v_add_f32_e32 v10, v38, v24
	v_fmac_f32_e32 v6, 0x3f5db3d7, v14
	v_fmac_f32_e32 v7, 0x3f5db3d7, v15
	v_fmac_f32_e32 v0, -0.5, v28
	v_fmac_f32_e32 v1, -0.5, v35
	v_sub_f32_e32 v10, v10, v26
	v_add_f32_e32 v11, v39, v25
	v_fmac_f32_e32 v6, 0x3eaf1d44, v38
	v_fmac_f32_e32 v7, 0x3eaf1d44, v39
	v_fmac_f32_e32 v0, 0xbf708fb2, v40
	v_fmac_f32_e32 v1, 0xbf708fb2, v41
	v_sub_f32_e32 v11, v11, v27
	v_fmac_f32_e32 v9, 0x3f5db3d7, v10
	v_mul_f32_e32 v12, 0x3f5db3d7, v10
	v_sub_f32_e32 v0, v0, v7
	v_add_f32_e32 v1, v6, v1
	v_add_f32_e32 v4, v4, v2
	;; [unrolled: 1-line block ×3, first 2 shown]
	v_add_u32_e32 v16, v34, v30
	v_fmac_f32_e32 v8, 0xbf5db3d7, v11
	v_mul_f32_e32 v10, 0x3f5db3d7, v11
	v_fma_f32 v11, -2.0, v12, v9
	s_mov_b32 s0, 0xbf248dbb
	v_mul_f32_e32 v12, 0x3f7c1c5c, v38
	s_barrier
	ds_write2_b64 v16, v[4:5], v[0:1] offset1:1
	v_mov_b32_e32 v4, v2
	v_mov_b32_e32 v5, v3
	v_fma_f32 v13, v26, s0, -v12
	v_mul_f32_e32 v12, 0x3f7c1c5c, v39
	v_fmac_f32_e32 v2, 0x3f441b7d, v19
	v_fmac_f32_e32 v3, 0x3f441b7d, v23
	v_fma_f32 v0, 2.0, v7, v0
	v_fma_f32 v1, -2.0, v6, v1
	v_mul_f32_e32 v7, 0xbf248dbb, v38
	v_mul_f32_e32 v6, 0xbf248dbb, v39
	v_fmac_f32_e32 v4, 0x3f441b7d, v40
	v_fmac_f32_e32 v5, 0x3f441b7d, v41
	v_fma_f32 v12, v27, s0, -v12
	v_fmac_f32_e32 v2, 0x3e31d0d4, v40
	v_fmac_f32_e32 v3, 0x3e31d0d4, v41
	;; [unrolled: 1-line block ×8, first 2 shown]
	v_fmac_f32_e32 v2, -0.5, v28
	v_fmac_f32_e32 v3, -0.5, v35
	v_fmac_f32_e32 v7, 0xbf5db3d7, v14
	v_fmac_f32_e32 v6, 0xbf5db3d7, v15
	v_fmac_f32_e32 v4, -0.5, v28
	v_fmac_f32_e32 v5, -0.5, v35
	v_fmac_f32_e32 v13, 0x3eaf1d44, v24
	v_fmac_f32_e32 v12, 0x3eaf1d44, v25
	;; [unrolled: 1-line block ×8, first 2 shown]
	v_sub_f32_e32 v2, v2, v12
	v_add_f32_e32 v3, v13, v3
	v_sub_f32_e32 v4, v4, v6
	v_add_f32_e32 v5, v7, v5
	v_fma_f32 v10, 2.0, v10, v8
	v_fma_f32 v12, 2.0, v12, v2
	v_fma_f32 v13, -2.0, v13, v3
	v_fma_f32 v6, 2.0, v6, v4
	v_fma_f32 v7, -2.0, v7, v5
	ds_write2_b64 v16, v[4:5], v[8:9] offset0:2 offset1:3
	ds_write2_b64 v16, v[2:3], v[12:13] offset0:4 offset1:5
	;; [unrolled: 1-line block ×3, first 2 shown]
	ds_write_b64 v16, v[0:1] offset:64
	s_waitcnt lgkmcnt(0)
	s_barrier
	ds_read2_b64 v[8:11], v21 offset0:12 offset1:27
	ds_read2_b64 v[12:15], v21 offset0:39 offset1:54
	;; [unrolled: 1-line block ×3, first 2 shown]
	ds_read_b64 v[25:26], v31
	ds_read_b64 v[27:28], v21 offset:744
	v_cmp_gt_u16_e64 s[0:1], 3, v32
                                        ; implicit-def: $vgpr5
	s_and_saveexec_b64 s[2:3], s[0:1]
	s_cbranch_execz .LBB0_14
; %bb.13:
	ds_read2_b64 v[0:3], v21 offset0:24 offset1:51
	ds_read2_b64 v[4:7], v21 offset0:78 offset1:105
.LBB0_14:
	s_or_b64 exec, exec, s[2:3]
	v_add_u32_e32 v23, -9, v20
	v_cmp_gt_u16_e64 s[2:3], 9, v32
	v_cndmask_b32_e64 v50, v23, v20, s[2:3]
	v_mul_i32_i24_e32 v23, 3, v50
	v_mov_b32_e32 v24, 0
	v_lshlrev_b64 v[35:36], 3, v[23:24]
	v_mov_b32_e32 v23, s11
	v_add_co_u32_e64 v38, s[2:3], s10, v35
	v_add_u32_e32 v35, 12, v20
	v_mov_b32_e32 v37, 57
	v_addc_co_u32_e64 v39, s[2:3], v23, v36, s[2:3]
	v_mul_lo_u16_sdwa v36, v35, v37 dst_sel:DWORD dst_unused:UNUSED_PAD src0_sel:BYTE_0 src1_sel:DWORD
	v_lshrrev_b16_e32 v51, 9, v36
	v_mul_lo_u16_e32 v36, 9, v51
	v_mov_b32_e32 v23, 3
	v_sub_u16_e32 v52, v35, v36
	v_mul_u32_u24_sdwa v36, v52, v23 dst_sel:DWORD dst_unused:UNUSED_PAD src0_sel:BYTE_0 src1_sel:DWORD
	global_load_dwordx2 v[46:47], v[38:39], off offset:16
	v_lshlrev_b32_e32 v36, 3, v36
	global_load_dwordx4 v[38:41], v[38:39], off
	s_nop 0
	global_load_dwordx4 v[42:45], v36, s[10:11]
	global_load_dwordx2 v[48:49], v36, s[10:11] offset:16
	v_mov_b32_e32 v53, 0x120
	v_cmp_lt_u16_e64 s[2:3], 8, v32
	v_cndmask_b32_e64 v32, 0, v53, s[2:3]
	s_movk_i32 s8, 0x120
	v_add_u32_e32 v32, 0, v32
	v_lshlrev_b32_e32 v50, 3, v50
	v_add3_u32 v32, v32, v50, v30
	v_mad_u32_u24 v50, v51, s8, 0
	s_waitcnt vmcnt(0) lgkmcnt(0)
	s_barrier
	v_add_u32_e32 v36, 24, v20
	v_mul_f32_e32 v51, v47, v19
	v_mul_f32_e32 v47, v47, v18
	v_mul_f32_e32 v53, v41, v15
	v_mul_f32_e32 v41, v41, v14
	v_mul_f32_e32 v54, v39, v11
	v_mul_f32_e32 v39, v39, v10
	v_fmac_f32_e32 v51, v46, v18
	v_fma_f32 v18, v46, v19, -v47
	v_mul_f32_e32 v19, v45, v17
	v_mul_f32_e32 v45, v45, v16
	;; [unrolled: 1-line block ×4, first 2 shown]
	v_fmac_f32_e32 v53, v40, v14
	v_fma_f32 v14, v40, v15, -v41
	v_mul_f32_e32 v15, v49, v28
	v_fmac_f32_e32 v54, v38, v10
	v_fma_f32 v10, v38, v11, -v39
	v_mul_f32_e32 v11, v49, v27
	v_fmac_f32_e32 v19, v44, v16
	v_fma_f32 v16, v44, v17, -v45
	v_fmac_f32_e32 v46, v42, v12
	v_fma_f32 v12, v42, v13, -v43
	;; [unrolled: 2-line block ×3, first 2 shown]
	v_sub_f32_e32 v17, v25, v53
	v_sub_f32_e32 v27, v26, v14
	;; [unrolled: 1-line block ×8, first 2 shown]
	v_fma_f32 v25, v25, 2.0, -v17
	v_fma_f32 v26, v26, 2.0, -v27
	;; [unrolled: 1-line block ×4, first 2 shown]
	v_add_f32_e32 v10, v17, v14
	v_sub_f32_e32 v11, v27, v13
	v_fma_f32 v39, v8, 2.0, -v18
	v_fma_f32 v40, v9, 2.0, -v19
	;; [unrolled: 1-line block ×4, first 2 shown]
	v_sub_f32_e32 v12, v25, v28
	v_sub_f32_e32 v13, v26, v38
	v_add_f32_e32 v8, v18, v16
	v_sub_f32_e32 v9, v19, v15
	v_fma_f32 v14, v17, 2.0, -v10
	v_sub_f32_e32 v16, v39, v41
	v_sub_f32_e32 v17, v40, v42
	v_fma_f32 v25, v25, 2.0, -v12
	ds_write2_b64 v32, v[12:13], v[10:11] offset0:18 offset1:27
	v_lshlrev_b32_sdwa v12, v23, v52 dst_sel:DWORD dst_unused:UNUSED_PAD src0_sel:DWORD src1_sel:BYTE_0
	v_fma_f32 v15, v27, 2.0, -v11
	v_fma_f32 v18, v18, 2.0, -v8
	;; [unrolled: 1-line block ×6, first 2 shown]
	v_add3_u32 v12, v50, v12, v30
	ds_write2_b64 v32, v[25:26], v[14:15] offset1:9
	ds_write2_b64 v12, v[10:11], v[18:19] offset1:9
	ds_write2_b64 v12, v[16:17], v[8:9] offset0:18 offset1:27
	s_and_saveexec_b64 s[2:3], s[0:1]
	s_cbranch_execz .LBB0_16
; %bb.15:
	v_mul_lo_u16_sdwa v8, v36, v37 dst_sel:DWORD dst_unused:UNUSED_PAD src0_sel:BYTE_0 src1_sel:DWORD
	v_lshrrev_b16_e32 v8, 9, v8
	v_mul_lo_u16_e32 v8, 9, v8
	v_sub_u16_e32 v14, v36, v8
	v_mul_u32_u24_sdwa v8, v14, v23 dst_sel:DWORD dst_unused:UNUSED_PAD src0_sel:BYTE_0 src1_sel:DWORD
	v_lshlrev_b32_e32 v15, 3, v8
	global_load_dwordx4 v[8:11], v15, s[10:11]
	global_load_dwordx2 v[12:13], v15, s[10:11] offset:16
	v_lshlrev_b32_sdwa v14, v23, v14 dst_sel:DWORD dst_unused:UNUSED_PAD src0_sel:DWORD src1_sel:BYTE_0
	v_add3_u32 v14, 0, v14, v30
	s_waitcnt vmcnt(1)
	v_mul_f32_e32 v15, v4, v11
	v_mul_f32_e32 v16, v3, v9
	s_waitcnt vmcnt(0)
	v_mul_f32_e32 v17, v7, v13
	v_mul_f32_e32 v11, v5, v11
	;; [unrolled: 1-line block ×4, first 2 shown]
	v_fma_f32 v5, v5, v10, -v15
	v_fmac_f32_e32 v16, v2, v8
	v_fmac_f32_e32 v17, v6, v12
	;; [unrolled: 1-line block ×3, first 2 shown]
	v_fma_f32 v4, v3, v8, -v9
	v_fma_f32 v2, v7, v12, -v13
	v_sub_f32_e32 v5, v1, v5
	v_sub_f32_e32 v6, v16, v17
	;; [unrolled: 1-line block ×5, first 2 shown]
	v_add_f32_e32 v2, v7, v8
	v_fma_f32 v9, v1, 2.0, -v5
	v_fma_f32 v4, v4, 2.0, -v8
	;; [unrolled: 1-line block ×5, first 2 shown]
	v_sub_f32_e32 v5, v9, v4
	v_sub_f32_e32 v4, v8, v6
	v_fma_f32 v0, v7, 2.0, -v2
	v_fma_f32 v7, v9, 2.0, -v5
	;; [unrolled: 1-line block ×3, first 2 shown]
	ds_write2_b64 v14, v[6:7], v[0:1] offset0:72 offset1:81
	ds_write2_b64 v14, v[4:5], v[2:3] offset0:90 offset1:99
.LBB0_16:
	s_or_b64 exec, exec, s[2:3]
	v_lshlrev_b32_e32 v23, 1, v20
	v_lshlrev_b64 v[0:1], 3, v[23:24]
	v_lshlrev_b32_e32 v23, 1, v35
	v_mov_b32_e32 v10, s11
	v_add_co_u32_e64 v0, s[0:1], s10, v0
	v_lshlrev_b64 v[4:5], 3, v[23:24]
	v_addc_co_u32_e64 v1, s[0:1], v10, v1, s[0:1]
	v_lshlrev_b32_e32 v23, 1, v36
	v_add_co_u32_e64 v4, s[0:1], s10, v4
	v_lshlrev_b64 v[8:9], 3, v[23:24]
	v_addc_co_u32_e64 v5, s[0:1], v10, v5, s[0:1]
	s_waitcnt lgkmcnt(0)
	s_barrier
	global_load_dwordx4 v[0:3], v[0:1], off offset:216
	v_add_co_u32_e64 v8, s[0:1], s10, v8
	global_load_dwordx4 v[4:7], v[4:5], off offset:216
	v_addc_co_u32_e64 v9, s[0:1], v10, v9, s[0:1]
	global_load_dwordx4 v[8:11], v[8:9], off offset:216
	v_sub_u32_e32 v35, v34, v33
	ds_read_b64 v[27:28], v31
	ds_read2_b64 v[12:15], v21 offset0:36 offset1:48
	ds_read2_b64 v[16:19], v21 offset0:60 offset1:72
	;; [unrolled: 1-line block ×4, first 2 shown]
	v_add_u32_e32 v30, v35, v30
	s_waitcnt vmcnt(0) lgkmcnt(0)
	s_barrier
	v_mul_f32_e32 v35, v1, v13
	v_mul_f32_e32 v1, v1, v12
	;; [unrolled: 1-line block ×4, first 2 shown]
	v_fmac_f32_e32 v35, v0, v12
	v_fma_f32 v0, v0, v13, -v1
	v_fmac_f32_e32 v36, v2, v18
	v_fma_f32 v1, v2, v19, -v3
	v_mul_f32_e32 v2, v5, v15
	v_mul_f32_e32 v3, v5, v14
	;; [unrolled: 1-line block ×4, first 2 shown]
	v_fmac_f32_e32 v2, v4, v14
	v_fma_f32 v3, v4, v15, -v3
	v_fmac_f32_e32 v5, v6, v31
	v_fma_f32 v6, v6, v32, -v7
	v_mul_f32_e32 v12, v9, v17
	v_mul_f32_e32 v4, v9, v16
	;; [unrolled: 1-line block ×4, first 2 shown]
	v_add_f32_e32 v11, v27, v35
	v_add_f32_e32 v13, v35, v36
	v_fmac_f32_e32 v12, v8, v16
	v_fmac_f32_e32 v9, v33, v10
	v_fma_f32 v10, v34, v10, -v7
	v_add_f32_e32 v7, v2, v5
	v_sub_f32_e32 v14, v0, v1
	v_add_f32_e32 v15, v28, v0
	v_add_f32_e32 v18, v0, v1
	v_fma_f32 v16, v8, v17, -v4
	v_add_f32_e32 v0, v11, v36
	v_fma_f32 v27, -0.5, v13, v27
	v_add_f32_e32 v4, v23, v2
	v_add_f32_e32 v11, v24, v3
	;; [unrolled: 1-line block ×3, first 2 shown]
	v_fma_f32 v17, -0.5, v7, v23
	v_add_f32_e32 v7, v12, v9
	v_add_f32_e32 v1, v15, v1
	v_sub_f32_e32 v8, v3, v6
	v_sub_f32_e32 v15, v2, v5
	v_add_f32_e32 v4, v4, v5
	v_add_f32_e32 v5, v11, v6
	v_fma_f32 v11, -0.5, v13, v24
	v_add_f32_e32 v6, v25, v12
	v_mov_b32_e32 v13, v17
	v_fma_f32 v25, -0.5, v7, v25
	v_fmac_f32_e32 v17, 0x3f5db3d7, v8
	v_fmac_f32_e32 v13, 0xbf5db3d7, v8
	v_sub_f32_e32 v7, v16, v10
	v_mov_b32_e32 v8, v25
	v_fmac_f32_e32 v8, 0xbf5db3d7, v7
	v_fmac_f32_e32 v25, 0x3f5db3d7, v7
	v_add_f32_e32 v7, v26, v16
	v_fmac_f32_e32 v28, -0.5, v18
	v_add_f32_e32 v7, v7, v10
	v_add_f32_e32 v10, v16, v10
	v_sub_f32_e32 v19, v35, v36
	v_mov_b32_e32 v2, v27
	v_mov_b32_e32 v3, v28
	v_fmac_f32_e32 v26, -0.5, v10
	v_fmac_f32_e32 v27, 0x3f5db3d7, v14
	v_fmac_f32_e32 v28, 0xbf5db3d7, v19
	;; [unrolled: 1-line block ×4, first 2 shown]
	v_mov_b32_e32 v14, v11
	v_add_f32_e32 v6, v6, v9
	v_sub_f32_e32 v10, v12, v9
	v_mov_b32_e32 v9, v26
	v_fmac_f32_e32 v11, 0xbf5db3d7, v15
	v_fmac_f32_e32 v14, 0x3f5db3d7, v15
	;; [unrolled: 1-line block ×4, first 2 shown]
	ds_write2_b64 v21, v[2:3], v[27:28] offset0:36 offset1:72
	ds_write2_b64 v21, v[0:1], v[4:5] offset1:12
	ds_write2_b32 v30, v13, v14 offset0:96 offset1:97
	ds_write2_b32 v30, v17, v11 offset0:168 offset1:169
	ds_write_b64 v21, v[6:7] offset:192
	ds_write2_b64 v21, v[8:9], v[25:26] offset0:60 offset1:96
	s_waitcnt lgkmcnt(0)
	s_barrier
	s_and_saveexec_b64 s[0:1], vcc
	s_cbranch_execz .LBB0_18
; %bb.17:
	v_mad_u64_u32 v[4:5], s[0:1], s6, v22, 0
	s_load_dwordx2 s[0:1], s[4:5], 0x58
	v_mov_b32_e32 v21, 0
	v_mov_b32_e32 v0, v5
	v_mad_u64_u32 v[5:6], s[2:3], s7, v22, v[0:1]
	v_lshl_add_u32 v6, v20, 3, v29
	ds_read2_b64 v[0:3], v6 offset1:12
	v_lshlrev_b64 v[4:5], 3, v[4:5]
	s_waitcnt lgkmcnt(0)
	v_mov_b32_e32 v7, s1
	v_add_co_u32_e32 v8, vcc, s0, v4
	v_addc_co_u32_e32 v7, vcc, v7, v5, vcc
	v_lshlrev_b64 v[4:5], 3, v[20:21]
	v_add_co_u32_e32 v4, vcc, v8, v4
	v_addc_co_u32_e32 v5, vcc, v7, v5, vcc
	global_store_dwordx2 v[4:5], v[0:1], off
	v_add_u32_e32 v0, 12, v20
	v_mov_b32_e32 v1, v21
	v_lshlrev_b64 v[0:1], 3, v[0:1]
	v_add_u32_e32 v4, 24, v20
	v_add_co_u32_e32 v0, vcc, v8, v0
	v_addc_co_u32_e32 v1, vcc, v7, v1, vcc
	global_store_dwordx2 v[0:1], v[2:3], off
	v_mov_b32_e32 v5, v21
	ds_read2_b64 v[0:3], v6 offset0:24 offset1:36
	v_lshlrev_b64 v[4:5], 3, v[4:5]
	v_add_co_u32_e32 v4, vcc, v8, v4
	v_addc_co_u32_e32 v5, vcc, v7, v5, vcc
	s_waitcnt lgkmcnt(0)
	global_store_dwordx2 v[4:5], v[0:1], off
	v_add_u32_e32 v0, 36, v20
	v_mov_b32_e32 v1, v21
	v_lshlrev_b64 v[0:1], 3, v[0:1]
	v_add_u32_e32 v4, 48, v20
	v_add_co_u32_e32 v0, vcc, v8, v0
	v_addc_co_u32_e32 v1, vcc, v7, v1, vcc
	global_store_dwordx2 v[0:1], v[2:3], off
	v_mov_b32_e32 v5, v21
	ds_read2_b64 v[0:3], v6 offset0:48 offset1:60
	v_lshlrev_b64 v[4:5], 3, v[4:5]
	v_add_co_u32_e32 v4, vcc, v8, v4
	v_addc_co_u32_e32 v5, vcc, v7, v5, vcc
	s_waitcnt lgkmcnt(0)
	;; [unrolled: 14-line block ×3, first 2 shown]
	global_store_dwordx2 v[4:5], v[0:1], off
	v_add_u32_e32 v0, 0x54, v20
	v_mov_b32_e32 v1, v21
	v_lshlrev_b64 v[0:1], 3, v[0:1]
	v_add_u32_e32 v20, 0x60, v20
	v_add_co_u32_e32 v0, vcc, v8, v0
	v_addc_co_u32_e32 v1, vcc, v7, v1, vcc
	global_store_dwordx2 v[0:1], v[2:3], off
	ds_read_b64 v[0:1], v6 offset:768
	v_lshlrev_b64 v[2:3], 3, v[20:21]
	v_add_co_u32_e32 v2, vcc, v8, v2
	v_addc_co_u32_e32 v3, vcc, v7, v3, vcc
	s_waitcnt lgkmcnt(0)
	global_store_dwordx2 v[2:3], v[0:1], off
.LBB0_18:
	s_endpgm
	.section	.rodata,"a",@progbits
	.p2align	6, 0x0
	.amdhsa_kernel fft_rtc_back_len108_factors_9_4_3_wgs_120_tpt_12_dim1_sp_op_CI_CI_unitstride_sbrr_C2R_dirReg
		.amdhsa_group_segment_fixed_size 0
		.amdhsa_private_segment_fixed_size 0
		.amdhsa_kernarg_size 96
		.amdhsa_user_sgpr_count 6
		.amdhsa_user_sgpr_private_segment_buffer 1
		.amdhsa_user_sgpr_dispatch_ptr 0
		.amdhsa_user_sgpr_queue_ptr 0
		.amdhsa_user_sgpr_kernarg_segment_ptr 1
		.amdhsa_user_sgpr_dispatch_id 0
		.amdhsa_user_sgpr_flat_scratch_init 0
		.amdhsa_user_sgpr_private_segment_size 0
		.amdhsa_uses_dynamic_stack 0
		.amdhsa_system_sgpr_private_segment_wavefront_offset 0
		.amdhsa_system_sgpr_workgroup_id_x 1
		.amdhsa_system_sgpr_workgroup_id_y 0
		.amdhsa_system_sgpr_workgroup_id_z 0
		.amdhsa_system_sgpr_workgroup_info 0
		.amdhsa_system_vgpr_workitem_id 0
		.amdhsa_next_free_vgpr 55
		.amdhsa_next_free_sgpr 12
		.amdhsa_reserve_vcc 1
		.amdhsa_reserve_flat_scratch 0
		.amdhsa_float_round_mode_32 0
		.amdhsa_float_round_mode_16_64 0
		.amdhsa_float_denorm_mode_32 3
		.amdhsa_float_denorm_mode_16_64 3
		.amdhsa_dx10_clamp 1
		.amdhsa_ieee_mode 1
		.amdhsa_fp16_overflow 0
		.amdhsa_exception_fp_ieee_invalid_op 0
		.amdhsa_exception_fp_denorm_src 0
		.amdhsa_exception_fp_ieee_div_zero 0
		.amdhsa_exception_fp_ieee_overflow 0
		.amdhsa_exception_fp_ieee_underflow 0
		.amdhsa_exception_fp_ieee_inexact 0
		.amdhsa_exception_int_div_zero 0
	.end_amdhsa_kernel
	.text
.Lfunc_end0:
	.size	fft_rtc_back_len108_factors_9_4_3_wgs_120_tpt_12_dim1_sp_op_CI_CI_unitstride_sbrr_C2R_dirReg, .Lfunc_end0-fft_rtc_back_len108_factors_9_4_3_wgs_120_tpt_12_dim1_sp_op_CI_CI_unitstride_sbrr_C2R_dirReg
                                        ; -- End function
	.section	.AMDGPU.csdata,"",@progbits
; Kernel info:
; codeLenInByte = 3952
; NumSgprs: 16
; NumVgprs: 55
; ScratchSize: 0
; MemoryBound: 0
; FloatMode: 240
; IeeeMode: 1
; LDSByteSize: 0 bytes/workgroup (compile time only)
; SGPRBlocks: 1
; VGPRBlocks: 13
; NumSGPRsForWavesPerEU: 16
; NumVGPRsForWavesPerEU: 55
; Occupancy: 4
; WaveLimiterHint : 1
; COMPUTE_PGM_RSRC2:SCRATCH_EN: 0
; COMPUTE_PGM_RSRC2:USER_SGPR: 6
; COMPUTE_PGM_RSRC2:TRAP_HANDLER: 0
; COMPUTE_PGM_RSRC2:TGID_X_EN: 1
; COMPUTE_PGM_RSRC2:TGID_Y_EN: 0
; COMPUTE_PGM_RSRC2:TGID_Z_EN: 0
; COMPUTE_PGM_RSRC2:TIDIG_COMP_CNT: 0
	.type	__hip_cuid_b025cc8634f2e5be,@object ; @__hip_cuid_b025cc8634f2e5be
	.section	.bss,"aw",@nobits
	.globl	__hip_cuid_b025cc8634f2e5be
__hip_cuid_b025cc8634f2e5be:
	.byte	0                               ; 0x0
	.size	__hip_cuid_b025cc8634f2e5be, 1

	.ident	"AMD clang version 19.0.0git (https://github.com/RadeonOpenCompute/llvm-project roc-6.4.0 25133 c7fe45cf4b819c5991fe208aaa96edf142730f1d)"
	.section	".note.GNU-stack","",@progbits
	.addrsig
	.addrsig_sym __hip_cuid_b025cc8634f2e5be
	.amdgpu_metadata
---
amdhsa.kernels:
  - .args:
      - .actual_access:  read_only
        .address_space:  global
        .offset:         0
        .size:           8
        .value_kind:     global_buffer
      - .actual_access:  read_only
        .address_space:  global
        .offset:         8
        .size:           8
        .value_kind:     global_buffer
      - .actual_access:  read_only
        .address_space:  global
        .offset:         16
        .size:           8
        .value_kind:     global_buffer
      - .actual_access:  read_only
        .address_space:  global
        .offset:         24
        .size:           8
        .value_kind:     global_buffer
      - .offset:         32
        .size:           8
        .value_kind:     by_value
      - .actual_access:  read_only
        .address_space:  global
        .offset:         40
        .size:           8
        .value_kind:     global_buffer
      - .actual_access:  read_only
        .address_space:  global
        .offset:         48
        .size:           8
        .value_kind:     global_buffer
      - .offset:         56
        .size:           4
        .value_kind:     by_value
      - .actual_access:  read_only
        .address_space:  global
        .offset:         64
        .size:           8
        .value_kind:     global_buffer
      - .actual_access:  read_only
        .address_space:  global
        .offset:         72
        .size:           8
        .value_kind:     global_buffer
      - .actual_access:  read_only
        .address_space:  global
        .offset:         80
        .size:           8
        .value_kind:     global_buffer
      - .actual_access:  write_only
        .address_space:  global
        .offset:         88
        .size:           8
        .value_kind:     global_buffer
    .group_segment_fixed_size: 0
    .kernarg_segment_align: 8
    .kernarg_segment_size: 96
    .language:       OpenCL C
    .language_version:
      - 2
      - 0
    .max_flat_workgroup_size: 120
    .name:           fft_rtc_back_len108_factors_9_4_3_wgs_120_tpt_12_dim1_sp_op_CI_CI_unitstride_sbrr_C2R_dirReg
    .private_segment_fixed_size: 0
    .sgpr_count:     16
    .sgpr_spill_count: 0
    .symbol:         fft_rtc_back_len108_factors_9_4_3_wgs_120_tpt_12_dim1_sp_op_CI_CI_unitstride_sbrr_C2R_dirReg.kd
    .uniform_work_group_size: 1
    .uses_dynamic_stack: false
    .vgpr_count:     55
    .vgpr_spill_count: 0
    .wavefront_size: 64
amdhsa.target:   amdgcn-amd-amdhsa--gfx906
amdhsa.version:
  - 1
  - 2
...

	.end_amdgpu_metadata
